;; amdgpu-corpus repo=ROCm/rocFFT kind=compiled arch=gfx950 opt=O3
	.text
	.amdgcn_target "amdgcn-amd-amdhsa--gfx950"
	.amdhsa_code_object_version 6
	.protected	fft_rtc_back_len512_factors_8_8_8_wgs_256_tpt_64_sp_op_CI_CI_sbcc_twdbase8_3step ; -- Begin function fft_rtc_back_len512_factors_8_8_8_wgs_256_tpt_64_sp_op_CI_CI_sbcc_twdbase8_3step
	.globl	fft_rtc_back_len512_factors_8_8_8_wgs_256_tpt_64_sp_op_CI_CI_sbcc_twdbase8_3step
	.p2align	8
	.type	fft_rtc_back_len512_factors_8_8_8_wgs_256_tpt_64_sp_op_CI_CI_sbcc_twdbase8_3step,@function
fft_rtc_back_len512_factors_8_8_8_wgs_256_tpt_64_sp_op_CI_CI_sbcc_twdbase8_3step: ; @fft_rtc_back_len512_factors_8_8_8_wgs_256_tpt_64_sp_op_CI_CI_sbcc_twdbase8_3step
; %bb.0:
	s_load_dwordx4 s[20:23], s[0:1], 0x18
	s_load_dwordx2 s[34:35], s[0:1], 0x28
	s_mov_b32 s3, 0
	s_mov_b64 s[24:25], 0
	s_waitcnt lgkmcnt(0)
	s_load_dwordx2 s[30:31], s[20:21], 0x8
	s_waitcnt lgkmcnt(0)
	s_add_u32 s4, s30, -1
	s_addc_u32 s5, s31, -1
	s_lshr_b64 s[4:5], s[4:5], 2
	s_add_u32 s36, s4, 1
	s_addc_u32 s37, s5, 0
	v_mov_b64_e32 v[2:3], s[36:37]
	v_cmp_lt_u64_e32 vcc, s[2:3], v[2:3]
	s_cbranch_vccnz .LBB0_2
; %bb.1:
	v_cvt_f32_u32_e32 v1, s36
	s_sub_i32 s4, 0, s36
	s_mov_b32 s25, s3
	v_rcp_iflag_f32_e32 v1, v1
	s_nop 0
	v_mul_f32_e32 v1, 0x4f7ffffe, v1
	v_cvt_u32_f32_e32 v1, v1
	s_nop 0
	v_readfirstlane_b32 s5, v1
	s_mul_i32 s4, s4, s5
	s_mul_hi_u32 s4, s5, s4
	s_add_i32 s5, s5, s4
	s_mul_hi_u32 s4, s2, s5
	s_mul_i32 s6, s4, s36
	s_sub_i32 s6, s2, s6
	s_add_i32 s5, s4, 1
	s_sub_i32 s7, s6, s36
	s_cmp_ge_u32 s6, s36
	s_cselect_b32 s4, s5, s4
	s_cselect_b32 s6, s7, s6
	s_add_i32 s5, s4, 1
	s_cmp_ge_u32 s6, s36
	s_cselect_b32 s24, s5, s4
.LBB0_2:
	s_load_dwordx4 s[8:11], s[0:1], 0x60
	s_load_dwordx4 s[16:19], s[22:23], 0x0
	;; [unrolled: 1-line block ×3, first 2 shown]
	s_load_dwordx2 s[26:27], s[0:1], 0x0
	s_load_dwordx4 s[12:15], s[0:1], 0x8
	s_mul_i32 s0, s24, s37
	s_mul_hi_u32 s1, s24, s36
	s_add_i32 s1, s1, s0
	s_mul_i32 s0, s24, s36
	s_sub_u32 s0, s2, s0
	s_subb_u32 s1, 0, s1
	v_mov_b32_e32 v1, s0
	s_lshl_b64 s[28:29], s[0:1], 2
	v_alignbit_b32 v1, s1, v1, 30
	s_waitcnt lgkmcnt(0)
	v_mul_lo_u32 v2, s18, v1
	s_mul_hi_u32 s0, s18, s28
	v_add_u32_e32 v2, s0, v2
	s_mul_i32 s0, s19, s28
	v_add_u32_e32 v5, s0, v2
	s_mul_i32 s0, s18, s28
	v_mov_b32_e32 v4, s0
	v_mul_lo_u32 v1, s6, v1
	s_mul_hi_u32 s0, s6, s28
	v_add_u32_e32 v1, s0, v1
	s_mul_i32 s0, s7, s28
	v_add_u32_e32 v3, s0, v1
	s_mul_i32 s0, s6, s28
	v_mov_b32_e32 v2, s0
	v_cmp_lt_u64_e64 s[0:1], s[14:15], 3
	s_and_b64 vcc, exec, s[0:1]
	s_cbranch_vccnz .LBB0_11
; %bb.3:
	s_add_u32 s38, s34, 16
	s_addc_u32 s39, s35, 0
	s_add_u32 s40, s22, 16
	s_addc_u32 s41, s23, 0
	s_add_u32 s20, s20, 16
	s_addc_u32 s21, s21, 0
	s_mov_b64 s[42:43], 2
	s_mov_b32 s44, 0
	v_mov_b64_e32 v[6:7], s[14:15]
	s_branch .LBB0_5
.LBB0_4:                                ;   in Loop: Header=BB0_5 Depth=1
	s_mul_i32 s33, s46, s37
	s_mul_hi_u32 s37, s46, s36
	s_add_i32 s33, s37, s33
	s_mul_i32 s37, s47, s36
	s_add_i32 s37, s33, s37
	s_mul_i32 s33, s0, s47
	s_mul_hi_u32 s45, s0, s46
	s_load_dwordx2 s[48:49], s[40:41], 0x0
	s_add_i32 s33, s45, s33
	s_mul_i32 s45, s1, s46
	s_add_i32 s33, s33, s45
	s_mul_i32 s45, s0, s46
	s_sub_u32 s45, s24, s45
	s_subb_u32 s33, s25, s33
	s_waitcnt lgkmcnt(0)
	s_mul_i32 s24, s48, s33
	s_mul_hi_u32 s25, s48, s45
	s_mul_i32 s36, s46, s36
	s_add_i32 s46, s25, s24
	s_load_dwordx2 s[24:25], s[38:39], 0x0
	s_mul_i32 s47, s49, s45
	s_add_i32 s47, s46, s47
	s_mul_i32 s46, s48, s45
	v_lshl_add_u64 v[4:5], s[46:47], 0, v[4:5]
	s_waitcnt lgkmcnt(0)
	s_mul_i32 s33, s24, s33
	s_mul_hi_u32 s46, s24, s45
	s_add_i32 s33, s46, s33
	s_mul_i32 s25, s25, s45
	s_add_i32 s25, s33, s25
	s_add_u32 s42, s42, 1
	s_addc_u32 s43, s43, 0
	s_add_u32 s38, s38, 8
	s_addc_u32 s39, s39, 0
	;; [unrolled: 2-line block ×3, first 2 shown]
	s_mul_i32 s24, s24, s45
	s_add_u32 s20, s20, 8
	v_cmp_ge_u64_e32 vcc, s[42:43], v[6:7]
	v_lshl_add_u64 v[2:3], s[24:25], 0, v[2:3]
	s_addc_u32 s21, s21, 0
	s_mov_b64 s[24:25], s[0:1]
	s_cbranch_vccnz .LBB0_9
.LBB0_5:                                ; =>This Inner Loop Header: Depth=1
	s_load_dwordx2 s[46:47], s[20:21], 0x0
	s_waitcnt lgkmcnt(0)
	s_or_b64 s[0:1], s[24:25], s[46:47]
	s_mov_b32 s45, s1
	s_cmp_lg_u64 s[44:45], 0
	s_cbranch_scc0 .LBB0_7
; %bb.6:                                ;   in Loop: Header=BB0_5 Depth=1
	v_cvt_f32_u32_e32 v1, s46
	v_cvt_f32_u32_e32 v8, s47
	s_sub_u32 s0, 0, s46
	s_subb_u32 s1, 0, s47
	v_fmac_f32_e32 v1, 0x4f800000, v8
	v_rcp_f32_e32 v1, v1
	s_nop 0
	v_mul_f32_e32 v1, 0x5f7ffffc, v1
	v_mul_f32_e32 v8, 0x2f800000, v1
	v_trunc_f32_e32 v8, v8
	v_fmac_f32_e32 v1, 0xcf800000, v8
	v_cvt_u32_f32_e32 v8, v8
	v_cvt_u32_f32_e32 v1, v1
	v_readfirstlane_b32 s33, v8
	v_readfirstlane_b32 s45, v1
	s_mul_i32 s48, s0, s33
	s_mul_hi_u32 s50, s0, s45
	s_mul_i32 s49, s1, s45
	s_add_i32 s48, s50, s48
	s_mul_i32 s51, s0, s45
	s_add_i32 s48, s48, s49
	s_mul_hi_u32 s49, s45, s48
	s_mul_i32 s50, s45, s48
	s_mul_hi_u32 s45, s45, s51
	s_add_u32 s45, s45, s50
	s_addc_u32 s49, 0, s49
	s_mul_hi_u32 s52, s33, s51
	s_mul_i32 s51, s33, s51
	s_add_u32 s45, s45, s51
	s_mul_hi_u32 s50, s33, s48
	s_addc_u32 s45, s49, s52
	s_addc_u32 s49, s50, 0
	s_mul_i32 s48, s33, s48
	s_add_u32 s45, s45, s48
	s_addc_u32 s48, 0, s49
	v_add_co_u32_e32 v1, vcc, s45, v1
	s_cmp_lg_u64 vcc, 0
	s_addc_u32 s33, s33, s48
	v_readfirstlane_b32 s48, v1
	s_mul_i32 s45, s0, s33
	s_mul_hi_u32 s49, s0, s48
	s_add_i32 s45, s49, s45
	s_mul_i32 s1, s1, s48
	s_add_i32 s45, s45, s1
	s_mul_i32 s0, s0, s48
	s_mul_hi_u32 s49, s33, s0
	s_mul_i32 s50, s33, s0
	s_mul_i32 s52, s48, s45
	s_mul_hi_u32 s0, s48, s0
	s_mul_hi_u32 s51, s48, s45
	s_add_u32 s0, s0, s52
	s_addc_u32 s48, 0, s51
	s_add_u32 s0, s0, s50
	s_mul_hi_u32 s1, s33, s45
	s_addc_u32 s0, s48, s49
	s_addc_u32 s1, s1, 0
	s_mul_i32 s45, s33, s45
	s_add_u32 s0, s0, s45
	s_addc_u32 s1, 0, s1
	v_add_co_u32_e32 v1, vcc, s0, v1
	s_cmp_lg_u64 vcc, 0
	s_addc_u32 s0, s33, s1
	v_readfirstlane_b32 s45, v1
	s_mul_i32 s33, s24, s0
	s_mul_hi_u32 s48, s24, s45
	s_mul_hi_u32 s1, s24, s0
	s_add_u32 s33, s48, s33
	s_addc_u32 s1, 0, s1
	s_mul_hi_u32 s49, s25, s45
	s_mul_i32 s45, s25, s45
	s_add_u32 s33, s33, s45
	s_mul_hi_u32 s48, s25, s0
	s_addc_u32 s1, s1, s49
	s_addc_u32 s33, s48, 0
	s_mul_i32 s0, s25, s0
	s_add_u32 s45, s1, s0
	s_addc_u32 s33, 0, s33
	s_mul_i32 s0, s46, s33
	s_mul_hi_u32 s1, s46, s45
	s_add_i32 s0, s1, s0
	s_mul_i32 s1, s47, s45
	s_add_i32 s48, s0, s1
	s_mul_i32 s1, s46, s45
	v_mov_b32_e32 v1, s1
	s_sub_i32 s0, s25, s48
	v_sub_co_u32_e32 v1, vcc, s24, v1
	s_cmp_lg_u64 vcc, 0
	s_subb_u32 s49, s0, s47
	v_subrev_co_u32_e64 v8, s[0:1], s46, v1
	s_cmp_lg_u64 s[0:1], 0
	s_subb_u32 s0, s49, 0
	s_cmp_ge_u32 s0, s47
	v_readfirstlane_b32 s49, v8
	s_cselect_b32 s1, -1, 0
	s_cmp_ge_u32 s49, s46
	s_cselect_b32 s49, -1, 0
	s_cmp_eq_u32 s0, s47
	s_cselect_b32 s0, s49, s1
	s_add_u32 s1, s45, 1
	s_addc_u32 s49, s33, 0
	s_add_u32 s50, s45, 2
	s_addc_u32 s51, s33, 0
	s_cmp_lg_u32 s0, 0
	s_cselect_b32 s0, s50, s1
	s_cselect_b32 s1, s51, s49
	s_cmp_lg_u64 vcc, 0
	s_subb_u32 s48, s25, s48
	s_cmp_ge_u32 s48, s47
	v_readfirstlane_b32 s50, v1
	s_cselect_b32 s49, -1, 0
	s_cmp_ge_u32 s50, s46
	s_cselect_b32 s50, -1, 0
	s_cmp_eq_u32 s48, s47
	s_cselect_b32 s48, s50, s49
	s_cmp_lg_u32 s48, 0
	s_cselect_b32 s1, s1, s33
	s_cselect_b32 s0, s0, s45
	s_cbranch_execnz .LBB0_4
	s_branch .LBB0_8
.LBB0_7:                                ;   in Loop: Header=BB0_5 Depth=1
                                        ; implicit-def: $sgpr0_sgpr1
.LBB0_8:                                ;   in Loop: Header=BB0_5 Depth=1
	v_cvt_f32_u32_e32 v1, s46
	s_sub_i32 s0, 0, s46
	v_rcp_iflag_f32_e32 v1, v1
	s_nop 0
	v_mul_f32_e32 v1, 0x4f7ffffe, v1
	v_cvt_u32_f32_e32 v1, v1
	s_nop 0
	v_readfirstlane_b32 s1, v1
	s_mul_i32 s0, s0, s1
	s_mul_hi_u32 s0, s1, s0
	s_add_i32 s1, s1, s0
	s_mul_hi_u32 s0, s24, s1
	s_mul_i32 s33, s0, s46
	s_sub_i32 s33, s24, s33
	s_add_i32 s1, s0, 1
	s_sub_i32 s45, s33, s46
	s_cmp_ge_u32 s33, s46
	s_cselect_b32 s0, s1, s0
	s_cselect_b32 s33, s45, s33
	s_add_i32 s1, s0, 1
	s_cmp_ge_u32 s33, s46
	s_cselect_b32 s0, s1, s0
	s_mov_b32 s1, s44
	s_branch .LBB0_4
.LBB0_9:
	v_mov_b64_e32 v[6:7], s[36:37]
	v_cmp_lt_u64_e32 vcc, s[2:3], v[6:7]
	s_mov_b64 s[24:25], 0
	s_cbranch_vccnz .LBB0_11
; %bb.10:
	v_cvt_f32_u32_e32 v1, s36
	s_sub_i32 s0, 0, s36
	v_rcp_iflag_f32_e32 v1, v1
	s_nop 0
	v_mul_f32_e32 v1, 0x4f7ffffe, v1
	v_cvt_u32_f32_e32 v1, v1
	s_nop 0
	v_readfirstlane_b32 s1, v1
	s_mul_i32 s0, s0, s1
	s_mul_hi_u32 s0, s1, s0
	s_add_i32 s1, s1, s0
	s_mul_hi_u32 s0, s2, s1
	s_mul_i32 s3, s0, s36
	s_sub_i32 s2, s2, s3
	s_add_i32 s1, s0, 1
	s_sub_i32 s3, s2, s36
	s_cmp_ge_u32 s2, s36
	s_cselect_b32 s0, s1, s0
	s_cselect_b32 s2, s3, s2
	s_add_i32 s1, s0, 1
	s_cmp_ge_u32 s2, s36
	s_cselect_b32 s24, s1, s0
.LBB0_11:
	s_lshl_b64 s[20:21], s[14:15], 3
	s_add_u32 s2, s34, s20
	s_addc_u32 s3, s35, s21
	s_add_u32 s0, s28, 4
	s_addc_u32 s1, s29, 0
	v_mov_b64_e32 v[6:7], s[30:31]
	v_and_b32_e32 v10, 3, v0
	v_cmp_le_u64_e32 vcc, s[0:1], v[6:7]
	v_or_b32_e32 v6, s28, v10
	v_mov_b32_e32 v7, s29
	v_lshrrev_b32_e32 v1, 2, v0
	v_cmp_gt_u64_e64 s[0:1], s[30:31], v[6:7]
	s_or_b64 s[0:1], vcc, s[0:1]
	v_lshlrev_b32_e32 v9, 9, v10
	v_add_u32_e32 v8, 64, v1
	v_lshlrev_b32_e32 v6, 12, v10
	v_lshlrev_b32_e32 v7, 3, v1
	s_and_saveexec_b64 s[14:15], s[0:1]
	s_cbranch_execz .LBB0_13
; %bb.12:
	s_add_u32 s20, s22, s20
	s_addc_u32 s21, s23, s21
	s_load_dwordx2 s[20:21], s[20:21], 0x0
	v_mad_u64_u32 v[12:13], s[22:23], s18, v10, 0
	v_mov_b32_e32 v14, v13
	v_lshlrev_b64 v[4:5], 3, v[4:5]
	s_waitcnt lgkmcnt(0)
	s_mul_i32 s18, s21, s24
	s_mul_hi_u32 s21, s20, s24
	s_add_i32 s21, s21, s18
	v_mad_u64_u32 v[14:15], s[18:19], s19, v10, v[14:15]
	v_mov_b32_e32 v13, v14
	v_mad_u64_u32 v[14:15], s[18:19], s16, v1, 0
	v_mov_b32_e32 v16, v15
	s_mul_i32 s20, s20, s24
	v_mad_u64_u32 v[16:17], s[18:19], s17, v1, v[16:17]
	s_lshl_b64 s[18:19], s[20:21], 3
	s_add_u32 s8, s8, s18
	s_addc_u32 s9, s9, s19
	v_lshl_add_u64 v[4:5], s[8:9], 0, v[4:5]
	v_mov_b32_e32 v15, v16
	v_lshl_add_u64 v[4:5], v[12:13], 3, v[4:5]
	v_lshl_add_u64 v[12:13], v[14:15], 3, v[4:5]
	v_mad_u64_u32 v[14:15], s[8:9], s16, v8, 0
	v_mov_b32_e32 v16, v15
	v_mad_u64_u32 v[16:17], s[8:9], s17, v8, v[16:17]
	v_add_u32_e32 v11, 0x80, v1
	v_mov_b32_e32 v15, v16
	v_mad_u64_u32 v[16:17], s[8:9], s16, v11, 0
	v_mov_b32_e32 v18, v17
	v_mad_u64_u32 v[18:19], s[8:9], s17, v11, v[18:19]
	v_add_u32_e32 v11, 0xc0, v1
	v_mov_b32_e32 v17, v18
	v_mad_u64_u32 v[18:19], s[8:9], s16, v11, 0
	v_mov_b32_e32 v20, v19
	v_mad_u64_u32 v[20:21], s[8:9], s17, v11, v[20:21]
	v_mov_b32_e32 v19, v20
	v_or_b32_e32 v11, 0x100, v1
	v_lshl_add_u64 v[14:15], v[14:15], 3, v[4:5]
	v_lshl_add_u64 v[16:17], v[16:17], 3, v[4:5]
	;; [unrolled: 1-line block ×3, first 2 shown]
	global_load_dwordx2 v[20:21], v[12:13], off
	global_load_dwordx2 v[22:23], v[14:15], off
	;; [unrolled: 1-line block ×4, first 2 shown]
	v_mad_u64_u32 v[12:13], s[8:9], s16, v11, 0
	v_mov_b32_e32 v14, v13
	v_mad_u64_u32 v[14:15], s[8:9], s17, v11, v[14:15]
	v_add_u32_e32 v11, 0x140, v1
	v_mov_b32_e32 v13, v14
	v_mad_u64_u32 v[14:15], s[8:9], s16, v11, 0
	v_mov_b32_e32 v16, v15
	v_mad_u64_u32 v[16:17], s[8:9], s17, v11, v[16:17]
	v_add_u32_e32 v11, 0x180, v1
	v_mov_b32_e32 v15, v16
	;; [unrolled: 5-line block ×3, first 2 shown]
	v_mad_u64_u32 v[18:19], s[8:9], s16, v11, 0
	v_mov_b32_e32 v28, v19
	v_mad_u64_u32 v[28:29], s[8:9], s17, v11, v[28:29]
	v_lshl_add_u64 v[12:13], v[12:13], 3, v[4:5]
	v_mov_b32_e32 v19, v28
	v_lshl_add_u64 v[14:15], v[14:15], 3, v[4:5]
	v_lshl_add_u64 v[16:17], v[16:17], 3, v[4:5]
	;; [unrolled: 1-line block ×3, first 2 shown]
	global_load_dwordx2 v[18:19], v[12:13], off
	global_load_dwordx2 v[28:29], v[14:15], off
	;; [unrolled: 1-line block ×4, first 2 shown]
	v_or_b32_e32 v4, v9, v1
	v_add_u32_e32 v5, v9, v1
	v_lshl_add_u32 v4, v4, 3, 0
	v_lshl_add_u32 v5, v5, 3, 0
	s_waitcnt vmcnt(7)
	ds_write_b64 v4, v[20:21]
	s_waitcnt vmcnt(5)
	ds_write2st64_b64 v5, v[22:23], v[24:25] offset0:1 offset1:2
	s_waitcnt vmcnt(3)
	ds_write2st64_b64 v5, v[26:27], v[18:19] offset0:3 offset1:4
	v_add3_u32 v4, 0, v6, v7
	s_waitcnt vmcnt(1)
	ds_write2st64_b64 v4, v[28:29], v[30:31] offset0:5 offset1:6
	s_waitcnt vmcnt(0)
	ds_write_b64 v4, v[32:33] offset:3584
.LBB0_13:
	s_or_b64 exec, exec, s[14:15]
	v_lshlrev_b32_e32 v4, 6, v0
	v_and_b32_e32 v11, 63, v0
	v_and_b32_e32 v4, 0x3000, v4
	v_add_u32_e32 v34, 0, v4
	v_lshlrev_b32_e32 v35, 3, v11
	v_add_u32_e32 v5, v34, v35
	s_load_dwordx2 s[2:3], s[2:3], 0x0
	s_waitcnt lgkmcnt(0)
	s_barrier
	v_add3_u32 v4, 0, v35, v4
	ds_read_b64 v[24:25], v5
	ds_read2st64_b64 v[12:15], v4 offset0:3 offset1:4
	ds_read2st64_b64 v[16:19], v4 offset0:1 offset1:2
	;; [unrolled: 1-line block ×3, first 2 shown]
	ds_read_b64 v[26:27], v4 offset:3584
	s_mov_b32 s8, 0x3f3504f3
	s_waitcnt lgkmcnt(3)
	v_pk_add_f32 v[14:15], v[24:25], v[14:15] neg_lo:[0,1] neg_hi:[0,1]
	v_mad_u32_u24 v32, v11, 56, v4
	s_waitcnt lgkmcnt(1)
	v_pk_add_f32 v[22:23], v[18:19], v[22:23] neg_lo:[0,1] neg_hi:[0,1]
	v_pk_add_f32 v[20:21], v[16:17], v[20:21] neg_lo:[0,1] neg_hi:[0,1]
	v_pk_fma_f32 v[18:19], v[18:19], 2.0, v[22:23] op_sel_hi:[1,0,1] neg_lo:[0,0,1] neg_hi:[0,0,1]
	s_waitcnt lgkmcnt(0)
	v_pk_add_f32 v[26:27], v[12:13], v[26:27] neg_lo:[0,1] neg_hi:[0,1]
	v_pk_add_f32 v[28:29], v[14:15], v[22:23] op_sel:[0,1] op_sel_hi:[1,0]
	v_pk_add_f32 v[22:23], v[14:15], v[22:23] op_sel:[0,1] op_sel_hi:[1,0] neg_lo:[0,1] neg_hi:[0,1]
	v_pk_fma_f32 v[12:13], v[12:13], 2.0, v[26:27] op_sel_hi:[1,0,1] neg_lo:[0,0,1] neg_hi:[0,0,1]
	v_mov_b32_e32 v29, v23
	v_pk_add_f32 v[22:23], v[20:21], v[26:27] op_sel:[0,1] op_sel_hi:[1,0]
	v_pk_add_f32 v[26:27], v[20:21], v[26:27] op_sel:[0,1] op_sel_hi:[1,0] neg_lo:[0,1] neg_hi:[0,1]
	v_pk_fma_f32 v[24:25], v[24:25], 2.0, v[14:15] op_sel_hi:[1,0,1] neg_lo:[0,0,1] neg_hi:[0,0,1]
	v_mov_b32_e32 v23, v27
	v_pk_fma_f32 v[16:17], v[16:17], 2.0, v[20:21] op_sel_hi:[1,0,1] neg_lo:[0,0,1] neg_hi:[0,0,1]
	v_pk_fma_f32 v[14:15], v[14:15], 2.0, v[28:29] op_sel_hi:[1,0,1] neg_lo:[0,0,1] neg_hi:[0,0,1]
	;; [unrolled: 1-line block ×3, first 2 shown]
	v_pk_add_f32 v[18:19], v[24:25], v[18:19] neg_lo:[0,1] neg_hi:[0,1]
	v_pk_add_f32 v[12:13], v[16:17], v[12:13] neg_lo:[0,1] neg_hi:[0,1]
	v_pk_mul_f32 v[26:27], v[20:21], s[8:9] op_sel_hi:[1,0]
	v_pk_fma_f32 v[20:21], v[20:21], s[8:9], v[14:15] op_sel_hi:[1,0,1] neg_lo:[1,0,0] neg_hi:[1,0,0]
	v_pk_fma_f32 v[24:25], v[24:25], 2.0, v[18:19] op_sel_hi:[1,0,1] neg_lo:[0,0,1] neg_hi:[0,0,1]
	v_pk_fma_f32 v[16:17], v[16:17], 2.0, v[12:13] op_sel_hi:[1,0,1] neg_lo:[0,0,1] neg_hi:[0,0,1]
	v_pk_add_f32 v[30:31], v[20:21], v[26:27] op_sel:[0,1] op_sel_hi:[1,0]
	v_pk_add_f32 v[20:21], v[20:21], v[26:27] op_sel:[0,1] op_sel_hi:[1,0] neg_lo:[0,1] neg_hi:[0,1]
	v_pk_add_f32 v[16:17], v[24:25], v[16:17] neg_lo:[0,1] neg_hi:[0,1]
	v_mov_b32_e32 v31, v21
	v_pk_fma_f32 v[24:25], v[24:25], 2.0, v[16:17] op_sel_hi:[1,0,1] neg_lo:[0,0,1] neg_hi:[0,0,1]
	v_pk_fma_f32 v[14:15], v[14:15], 2.0, v[30:31] op_sel_hi:[1,0,1] neg_lo:[0,0,1] neg_hi:[0,0,1]
	s_barrier
	ds_write2_b64 v32, v[24:25], v[14:15] offset1:1
	v_pk_mul_f32 v[24:25], v[22:23], s[8:9] op_sel_hi:[1,0]
	v_pk_fma_f32 v[22:23], v[22:23], s[8:9], v[28:29] op_sel_hi:[1,0,1]
	v_pk_add_f32 v[14:15], v[18:19], v[12:13] op_sel:[0,1] op_sel_hi:[1,0]
	v_pk_add_f32 v[12:13], v[18:19], v[12:13] op_sel:[0,1] op_sel_hi:[1,0] neg_lo:[0,1] neg_hi:[0,1]
	v_pk_add_f32 v[26:27], v[22:23], v[24:25] op_sel:[0,1] op_sel_hi:[1,0]
	v_pk_add_f32 v[22:23], v[22:23], v[24:25] op_sel:[0,1] op_sel_hi:[1,0] neg_lo:[0,1] neg_hi:[0,1]
	v_mov_b32_e32 v15, v13
	v_mov_b32_e32 v27, v23
	v_pk_fma_f32 v[18:19], v[18:19], 2.0, v[14:15] op_sel_hi:[1,0,1] neg_lo:[0,0,1] neg_hi:[0,0,1]
	v_pk_fma_f32 v[24:25], v[28:29], 2.0, v[26:27] op_sel_hi:[1,0,1] neg_lo:[0,0,1] neg_hi:[0,0,1]
	ds_write2_b64 v32, v[18:19], v[24:25] offset0:2 offset1:3
	ds_write2_b64 v32, v[16:17], v[30:31] offset0:4 offset1:5
	;; [unrolled: 1-line block ×3, first 2 shown]
	v_and_b32_e32 v24, 7, v0
	v_mul_u32_u24_e32 v12, 7, v24
	v_lshlrev_b32_e32 v25, 3, v12
	s_waitcnt lgkmcnt(0)
	s_barrier
	global_load_dwordx4 v[12:15], v25, s[26:27]
	global_load_dwordx4 v[16:19], v25, s[26:27] offset:16
	global_load_dwordx4 v[20:23], v25, s[26:27] offset:32
	global_load_dwordx2 v[32:33], v25, s[26:27] offset:48
	v_lshrrev_b32_e32 v0, 6, v0
	s_movk_i32 s9, 0x1c0
	v_add_u32_e32 v50, s28, v0
	v_and_or_b32 v0, v35, s9, v24
	v_add_u32_e32 v35, 0xc00, v4
	v_lshl_add_u32 v51, v0, 3, v34
	ds_read2st64_b64 v[24:27], v4 offset0:1 offset1:2
	ds_read2st64_b64 v[28:31], v4 offset0:3 offset1:4
	ds_read2_b32 v[34:35], v35 offset1:1
	ds_read_b64 v[36:37], v5
	ds_read_b64 v[38:39], v4 offset:2560
	ds_read_b64 v[40:41], v4 offset:3584
	s_waitcnt lgkmcnt(0)
	v_mov_b32_e32 v0, v35
	s_barrier
	v_mov_b32_e32 v52, 0x1000
	s_waitcnt vmcnt(3)
	v_pk_mul_f32 v[42:43], v[12:13], v[24:25] op_sel:[0,1]
	v_pk_mul_f32 v[44:45], v[14:15], v[26:27] op_sel:[0,1]
	v_pk_fma_f32 v[48:49], v[12:13], v[24:25], v[42:43] op_sel:[0,0,1] op_sel_hi:[1,1,0]
	v_pk_fma_f32 v[12:13], v[12:13], v[24:25], v[42:43] op_sel:[0,0,1] op_sel_hi:[1,0,0] neg_lo:[1,0,0] neg_hi:[1,0,0]
	v_pk_fma_f32 v[24:25], v[14:15], v[26:27], v[44:45] op_sel:[0,0,1] op_sel_hi:[1,1,0]
	v_pk_fma_f32 v[14:15], v[14:15], v[26:27], v[44:45] op_sel:[0,0,1] op_sel_hi:[1,0,0] neg_lo:[1,0,0] neg_hi:[1,0,0]
	v_mov_b32_e32 v49, v13
	s_waitcnt vmcnt(2)
	v_pk_mul_f32 v[12:13], v[18:19], v[30:31] op_sel:[0,1]
	v_pk_mul_f32 v[46:47], v[16:17], v[28:29] op_sel:[0,1]
	v_mov_b32_e32 v25, v15
	v_pk_fma_f32 v[14:15], v[18:19], v[30:31], v[12:13] op_sel:[0,0,1] op_sel_hi:[1,1,0]
	v_pk_fma_f32 v[12:13], v[18:19], v[30:31], v[12:13] op_sel:[0,0,1] op_sel_hi:[1,0,0] neg_lo:[1,0,0] neg_hi:[1,0,0]
	v_pk_fma_f32 v[26:27], v[16:17], v[28:29], v[46:47] op_sel:[0,0,1] op_sel_hi:[1,1,0]
	v_pk_fma_f32 v[16:17], v[16:17], v[28:29], v[46:47] op_sel:[0,0,1] op_sel_hi:[1,0,0] neg_lo:[1,0,0] neg_hi:[1,0,0]
	v_mov_b32_e32 v15, v13
	s_waitcnt vmcnt(1)
	v_pk_mul_f32 v[12:13], v[20:21], v[38:39] op_sel:[0,1]
	v_mov_b32_e32 v27, v17
	v_pk_fma_f32 v[16:17], v[20:21], v[38:39], v[12:13] op_sel:[0,0,1] op_sel_hi:[1,1,0]
	v_pk_fma_f32 v[12:13], v[20:21], v[38:39], v[12:13] op_sel:[0,0,1] op_sel_hi:[1,0,0] neg_lo:[1,0,0] neg_hi:[1,0,0]
	v_mul_lo_u32 v38, v50, v11
	v_mov_b32_e32 v17, v13
	v_pk_mul_f32 v[12:13], v[0:1], v[22:23] op_sel_hi:[0,1]
	v_pk_fma_f32 v[18:19], v[22:23], v[34:35], v[12:13] op_sel:[0,0,1] op_sel_hi:[1,1,0]
	v_pk_fma_f32 v[12:13], v[22:23], v[34:35], v[12:13] op_sel:[0,0,1] op_sel_hi:[1,0,0] neg_lo:[1,0,0] neg_hi:[1,0,0]
	v_pk_add_f32 v[16:17], v[48:49], v[16:17] neg_lo:[0,1] neg_hi:[0,1]
	v_mov_b32_e32 v19, v13
	s_waitcnt vmcnt(0)
	v_pk_mul_f32 v[12:13], v[40:41], v[32:33] op_sel:[0,1]
	v_pk_add_f32 v[18:19], v[24:25], v[18:19] neg_lo:[0,1] neg_hi:[0,1]
	v_pk_fma_f32 v[20:21], v[40:41], v[32:33], v[12:13] op_sel:[0,0,1] op_sel_hi:[1,1,0]
	v_pk_fma_f32 v[12:13], v[40:41], v[32:33], v[12:13] op_sel:[0,0,1] op_sel_hi:[1,0,0] neg_lo:[0,0,1] neg_hi:[0,0,1]
	v_pk_fma_f32 v[22:23], v[24:25], 2.0, v[18:19] op_sel_hi:[1,0,1] neg_lo:[0,0,1] neg_hi:[0,0,1]
	v_mov_b32_e32 v21, v13
	v_pk_add_f32 v[12:13], v[36:37], v[14:15] neg_lo:[0,1] neg_hi:[0,1]
	v_pk_add_f32 v[20:21], v[26:27], v[20:21] neg_lo:[0,1] neg_hi:[0,1]
	v_pk_add_f32 v[28:29], v[12:13], v[18:19] op_sel:[0,1] op_sel_hi:[1,0]
	v_pk_add_f32 v[18:19], v[12:13], v[18:19] op_sel:[0,1] op_sel_hi:[1,0] neg_lo:[0,1] neg_hi:[0,1]
	v_pk_fma_f32 v[26:27], v[26:27], 2.0, v[20:21] op_sel_hi:[1,0,1] neg_lo:[0,0,1] neg_hi:[0,0,1]
	v_mov_b32_e32 v29, v19
	v_pk_add_f32 v[18:19], v[16:17], v[20:21] op_sel:[0,1] op_sel_hi:[1,0]
	v_pk_add_f32 v[20:21], v[16:17], v[20:21] op_sel:[0,1] op_sel_hi:[1,0] neg_lo:[0,1] neg_hi:[0,1]
	v_pk_fma_f32 v[14:15], v[36:37], 2.0, v[12:13] op_sel_hi:[1,0,1] neg_lo:[0,0,1] neg_hi:[0,0,1]
	v_mov_b32_e32 v19, v21
	v_pk_fma_f32 v[24:25], v[48:49], 2.0, v[16:17] op_sel_hi:[1,0,1] neg_lo:[0,0,1] neg_hi:[0,0,1]
	v_pk_fma_f32 v[12:13], v[12:13], 2.0, v[28:29] op_sel_hi:[1,0,1] neg_lo:[0,0,1] neg_hi:[0,0,1]
	;; [unrolled: 1-line block ×3, first 2 shown]
	v_pk_add_f32 v[22:23], v[14:15], v[22:23] neg_lo:[0,1] neg_hi:[0,1]
	v_pk_add_f32 v[26:27], v[24:25], v[26:27] neg_lo:[0,1] neg_hi:[0,1]
	v_pk_mul_f32 v[20:21], v[16:17], s[8:9] op_sel_hi:[1,0]
	v_pk_fma_f32 v[16:17], v[16:17], s[8:9], v[12:13] op_sel_hi:[1,0,1] neg_lo:[1,0,0] neg_hi:[1,0,0]
	v_pk_fma_f32 v[14:15], v[14:15], 2.0, v[22:23] op_sel_hi:[1,0,1] neg_lo:[0,0,1] neg_hi:[0,0,1]
	v_pk_fma_f32 v[24:25], v[24:25], 2.0, v[26:27] op_sel_hi:[1,0,1] neg_lo:[0,0,1] neg_hi:[0,0,1]
	v_pk_add_f32 v[30:31], v[16:17], v[20:21] op_sel:[0,1] op_sel_hi:[1,0]
	v_pk_add_f32 v[16:17], v[16:17], v[20:21] op_sel:[0,1] op_sel_hi:[1,0] neg_lo:[0,1] neg_hi:[0,1]
	v_pk_add_f32 v[24:25], v[14:15], v[24:25] neg_lo:[0,1] neg_hi:[0,1]
	v_mov_b32_e32 v31, v17
	v_pk_fma_f32 v[14:15], v[14:15], 2.0, v[24:25] op_sel_hi:[1,0,1] neg_lo:[0,0,1] neg_hi:[0,0,1]
	v_pk_fma_f32 v[12:13], v[12:13], 2.0, v[30:31] op_sel_hi:[1,0,1] neg_lo:[0,0,1] neg_hi:[0,0,1]
	v_pk_mul_f32 v[16:17], v[18:19], s[8:9] op_sel_hi:[1,0]
	v_pk_fma_f32 v[18:19], v[18:19], s[8:9], v[28:29] op_sel_hi:[1,0,1]
	ds_write2_b64 v51, v[14:15], v[12:13] offset1:8
	v_pk_add_f32 v[12:13], v[22:23], v[26:27] op_sel:[0,1] op_sel_hi:[1,0]
	v_pk_add_f32 v[14:15], v[22:23], v[26:27] op_sel:[0,1] op_sel_hi:[1,0] neg_lo:[0,1] neg_hi:[0,1]
	v_pk_add_f32 v[20:21], v[18:19], v[16:17] op_sel:[0,1] op_sel_hi:[1,0]
	v_pk_add_f32 v[16:17], v[18:19], v[16:17] op_sel:[0,1] op_sel_hi:[1,0] neg_lo:[0,1] neg_hi:[0,1]
	v_mov_b32_e32 v13, v15
	v_mov_b32_e32 v21, v17
	v_pk_fma_f32 v[14:15], v[22:23], 2.0, v[12:13] op_sel_hi:[1,0,1] neg_lo:[0,0,1] neg_hi:[0,0,1]
	v_pk_fma_f32 v[16:17], v[28:29], 2.0, v[20:21] op_sel_hi:[1,0,1] neg_lo:[0,0,1] neg_hi:[0,0,1]
	ds_write2_b64 v51, v[14:15], v[16:17] offset0:16 offset1:24
	ds_write2_b64 v51, v[24:25], v[30:31] offset0:32 offset1:40
	;; [unrolled: 1-line block ×3, first 2 shown]
	v_or_b32_e32 v12, 64, v11
	v_mov_b32_e32 v0, 3
	v_mul_lo_u32 v14, v50, v12
	v_lshlrev_b32_sdwa v12, v0, v14 dst_sel:DWORD dst_unused:UNUSED_PAD src0_sel:DWORD src1_sel:BYTE_0
	s_waitcnt lgkmcnt(0)
	s_barrier
	global_load_dword v54, v12, s[12:13]
	v_or_b32_e32 v12, 0x140, v11
	v_or_b32_e32 v16, 0x80, v11
	v_mul_lo_u32 v44, v50, v12
	v_lshlrev_b32_sdwa v12, v0, v14 dst_sel:DWORD dst_unused:UNUSED_PAD src0_sel:DWORD src1_sel:BYTE_1
	v_bfe_u32 v14, v14, 16, 8
	v_mul_lo_u32 v18, v50, v16
	v_or_b32_e32 v17, 0x180, v11
	v_lshlrev_b32_sdwa v42, v0, v44 dst_sel:DWORD dst_unused:UNUSED_PAD src0_sel:DWORD src1_sel:BYTE_0
	v_lshl_or_b32 v14, v14, 3, v52
	v_lshlrev_b32_sdwa v16, v0, v18 dst_sel:DWORD dst_unused:UNUSED_PAD src0_sel:DWORD src1_sel:BYTE_0
	v_mul_lo_u32 v48, v50, v17
	global_load_dwordx2 v[24:25], v42, s[12:13]
	v_lshlrev_b32_sdwa v46, v0, v48 dst_sel:DWORD dst_unused:UNUSED_PAD src0_sel:DWORD src1_sel:BYTE_0
	global_load_dwordx2 v[14:15], v14, s[12:13]
	v_or_b32_e32 v23, 0x100, v11
	global_load_dwordx2 v[12:13], v12, s[12:13] offset:2048
	s_nop 0
	global_load_dword v55, v16, s[12:13]
	global_load_dwordx2 v[32:33], v46, s[12:13]
	v_lshlrev_b32_sdwa v16, v0, v18 dst_sel:DWORD dst_unused:UNUSED_PAD src0_sel:DWORD src1_sel:BYTE_1
	v_bfe_u32 v18, v18, 16, 8
	v_lshl_or_b32 v20, v18, 3, v52
	v_or_b32_e32 v18, 0xc0, v11
	global_load_dwordx2 v[16:17], v16, s[12:13] offset:2048
	v_mul_lo_u32 v22, v50, v18
	v_or_b32_e32 v18, 0x1c0, v11
	v_mul_lo_u32 v53, v50, v18
	v_lshlrev_b32_sdwa v21, v0, v22 dst_sel:DWORD dst_unused:UNUSED_PAD src0_sel:DWORD src1_sel:BYTE_0
	v_lshlrev_b32_sdwa v51, v0, v53 dst_sel:DWORD dst_unused:UNUSED_PAD src0_sel:DWORD src1_sel:BYTE_0
	global_load_dwordx2 v[18:19], v20, s[12:13]
	global_load_dword v56, v21, s[12:13]
	global_load_dwordx2 v[34:35], v51, s[12:13]
	v_lshlrev_b32_sdwa v20, v0, v22 dst_sel:DWORD dst_unused:UNUSED_PAD src0_sel:DWORD src1_sel:BYTE_1
	global_load_dwordx2 v[20:21], v20, s[12:13] offset:2048
	v_bfe_u32 v22, v22, 16, 8
	v_lshl_or_b32 v22, v22, 3, v52
	v_mul_lo_u32 v40, v50, v23
	global_load_dwordx2 v[22:23], v22, s[12:13]
	v_lshlrev_b32_sdwa v30, v0, v40 dst_sel:DWORD dst_unused:UNUSED_PAD src0_sel:DWORD src1_sel:BYTE_0
	v_lshlrev_b32_sdwa v31, v0, v40 dst_sel:DWORD dst_unused:UNUSED_PAD src0_sel:DWORD src1_sel:BYTE_1
	global_load_dwordx2 v[26:27], v30, s[12:13]
	global_load_dwordx2 v[28:29], v31, s[12:13] offset:2048
	v_lshlrev_b32_sdwa v39, v0, v38 dst_sel:DWORD dst_unused:UNUSED_PAD src0_sel:DWORD src1_sel:BYTE_0
	v_lshlrev_b32_sdwa v41, v0, v38 dst_sel:DWORD dst_unused:UNUSED_PAD src0_sel:DWORD src1_sel:BYTE_1
	global_load_dwordx2 v[30:31], v39, s[12:13]
	global_load_dwordx2 v[36:37], v41, s[12:13] offset:2048
	v_bfe_u32 v38, v38, 16, 8
	v_bfe_u32 v40, v40, 16, 8
	v_lshl_or_b32 v38, v38, 3, v52
	v_lshl_or_b32 v43, v40, 3, v52
	global_load_dwordx2 v[38:39], v38, s[12:13]
	s_nop 0
	global_load_dwordx2 v[40:41], v43, s[12:13]
	global_load_dword v57, v42, s[12:13] offset:4
	v_lshlrev_b32_sdwa v42, v0, v44 dst_sel:DWORD dst_unused:UNUSED_PAD src0_sel:DWORD src1_sel:BYTE_1
	v_bfe_u32 v44, v44, 16, 8
	v_lshl_or_b32 v47, v44, 3, v52
	global_load_dwordx2 v[42:43], v42, s[12:13] offset:2048
	s_nop 0
	global_load_dwordx2 v[44:45], v47, s[12:13]
	global_load_dword v58, v46, s[12:13] offset:4
	v_lshlrev_b32_sdwa v46, v0, v48 dst_sel:DWORD dst_unused:UNUSED_PAD src0_sel:DWORD src1_sel:BYTE_1
	v_bfe_u32 v48, v48, 16, 8
	global_load_dwordx2 v[46:47], v46, s[12:13] offset:2048
	v_lshl_or_b32 v50, v48, 3, v52
	v_lshlrev_b32_sdwa v0, v0, v53 dst_sel:DWORD dst_unused:UNUSED_PAD src0_sel:DWORD src1_sel:BYTE_1
	global_load_dwordx2 v[48:49], v50, s[12:13]
	global_load_dword v59, v51, s[12:13] offset:4
	s_nop 0
	global_load_dwordx2 v[50:51], v0, s[12:13] offset:2048
	v_bfe_u32 v0, v53, 16, 8
	v_lshl_or_b32 v0, v0, 3, v52
	global_load_dwordx2 v[52:53], v0, s[12:13]
	v_mul_u32_u24_e32 v0, 7, v11
	v_lshlrev_b32_e32 v0, 3, v0
	s_waitcnt vmcnt(23)
	v_mul_f32_e32 v11, v25, v13
	v_mul_f32_e32 v13, v54, v13
	v_fmac_f32_e32 v13, v25, v12
	v_fma_f32 v11, v54, v12, -v11
	v_mul_f32_e32 v12, v13, v15
	v_fma_f32 v54, v14, v11, -v12
	s_waitcnt vmcnt(20)
	v_mul_f32_e32 v25, v33, v17
	v_mul_f32_e32 v17, v55, v17
	;; [unrolled: 1-line block ×3, first 2 shown]
	v_fmac_f32_e32 v17, v33, v16
	v_fmac_f32_e32 v11, v14, v13
	global_load_dwordx4 v[12:15], v0, s[26:27] offset:448
	v_fma_f32 v25, v55, v16, -v25
	s_waitcnt vmcnt(20)
	v_mul_f32_e32 v16, v17, v19
	v_fma_f32 v55, v18, v25, -v16
	v_mul_f32_e32 v60, v25, v19
	s_waitcnt vmcnt(17)
	v_mul_f32_e32 v16, v35, v21
	v_fmac_f32_e32 v60, v18, v17
	v_fma_f32 v25, v56, v20, -v16
	global_load_dwordx4 v[16:19], v0, s[26:27] offset:464
	v_mul_f32_e32 v21, v56, v21
	v_fmac_f32_e32 v21, v35, v20
	s_waitcnt vmcnt(17)
	v_mul_f32_e32 v20, v21, v23
	v_fma_f32 v56, v22, v25, -v20
	v_mul_f32_e32 v61, v25, v23
	s_waitcnt vmcnt(15)
	v_mul_f32_e32 v20, v27, v29
	v_fmac_f32_e32 v61, v22, v21
	v_fma_f32 v25, v26, v28, -v20
	global_load_dwordx4 v[20:23], v0, s[26:27] offset:480
	v_mul_f32_e32 v29, v26, v29
	s_waitcnt vmcnt(14)
	v_mul_f32_e32 v26, v30, v36
	v_fmac_f32_e32 v29, v27, v28
	v_fma_f32 v28, -v31, v37, v26
	v_pk_mul_f32 v[26:27], v[30:31], v[36:37] op_sel:[1,0] op_sel_hi:[0,1]
	global_load_dwordx2 v[36:37], v0, s[26:27] offset:496
	v_add_f32_e32 v26, v26, v27
	s_waitcnt vmcnt(14)
	v_mul_f32_e32 v0, v28, v39
	v_fmac_f32_e32 v0, v38, v26
	v_mul_f32_e32 v26, v26, v39
	v_fma_f32 v38, v38, v28, -v26
	s_waitcnt vmcnt(13)
	v_mul_f32_e32 v26, v29, v41
	v_mul_f32_e32 v62, v25, v41
	s_waitcnt vmcnt(8)
	v_mul_f32_e32 v33, v58, v47
	v_fma_f32 v39, v40, v25, -v26
	v_fmac_f32_e32 v62, v40, v29
	v_mul_f32_e32 v25, v57, v43
	v_mul_f32_e32 v29, v24, v43
	v_fma_f32 v33, v32, v46, -v33
	v_mul_f32_e32 v32, v32, v47
	v_fma_f32 v28, v24, v42, -v25
	ds_read2st64_b64 v[24:27], v4 offset0:1 offset1:2
	v_fmac_f32_e32 v29, v57, v42
	v_fmac_f32_e32 v32, v58, v46
	v_mul_f32_e32 v30, v29, v45
	v_mul_f32_e32 v45, v28, v45
	s_waitcnt vmcnt(7)
	v_mul_f32_e32 v35, v32, v49
	v_fma_f32 v57, v44, v28, -v30
	v_fmac_f32_e32 v45, v44, v29
	ds_read2st64_b64 v[28:31], v4 offset0:3 offset1:4
	v_fma_f32 v44, v48, v33, -v35
	v_mul_f32_e32 v46, v33, v49
	s_waitcnt vmcnt(5)
	v_mul_f32_e32 v33, v34, v51
	v_fmac_f32_e32 v46, v48, v32
	v_mul_f32_e32 v32, v59, v51
	v_fmac_f32_e32 v33, v59, v50
	v_fma_f32 v32, v34, v50, -v32
	s_waitcnt vmcnt(4)
	v_mul_f32_e32 v34, v33, v53
	v_fma_f32 v47, v52, v32, -v34
	v_mul_f32_e32 v48, v32, v53
	v_fmac_f32_e32 v48, v52, v33
	ds_read_b64 v[32:33], v5
	s_waitcnt vmcnt(3) lgkmcnt(2)
	v_pk_mul_f32 v[34:35], v[12:13], v[24:25] op_sel:[0,1]
	s_nop 0
	v_pk_fma_f32 v[40:41], v[12:13], v[24:25], v[34:35] op_sel:[0,0,1] op_sel_hi:[1,1,0]
	v_pk_fma_f32 v[24:25], v[12:13], v[24:25], v[34:35] op_sel:[0,0,1] op_sel_hi:[1,0,0] neg_lo:[1,0,0] neg_hi:[1,0,0]
	v_pk_mul_f32 v[12:13], v[14:15], v[26:27] op_sel:[0,1]
	v_mov_b32_e32 v41, v25
	v_pk_fma_f32 v[34:35], v[14:15], v[26:27], v[12:13] op_sel:[0,0,1] op_sel_hi:[1,1,0]
	v_pk_fma_f32 v[26:27], v[14:15], v[26:27], v[12:13] op_sel:[0,0,1] op_sel_hi:[1,0,0] neg_lo:[1,0,0] neg_hi:[1,0,0]
	ds_read2st64_b64 v[12:15], v4 offset0:5 offset1:6
	ds_read_b64 v[42:43], v4 offset:3584
	s_waitcnt vmcnt(2) lgkmcnt(3)
	v_pk_mul_f32 v[24:25], v[16:17], v[28:29] op_sel:[0,1]
	v_mov_b32_e32 v35, v27
	v_pk_fma_f32 v[26:27], v[16:17], v[28:29], v[24:25] op_sel:[0,0,1] op_sel_hi:[1,1,0]
	v_pk_fma_f32 v[16:17], v[16:17], v[28:29], v[24:25] op_sel:[0,0,1] op_sel_hi:[1,0,0] neg_lo:[1,0,0] neg_hi:[1,0,0]
	s_waitcnt lgkmcnt(0)
	v_mov_b32_e32 v27, v17
	v_pk_mul_f32 v[16:17], v[18:19], v[30:31] op_sel:[0,1]
	s_barrier
	v_pk_fma_f32 v[24:25], v[18:19], v[30:31], v[16:17] op_sel:[0,0,1] op_sel_hi:[1,1,0]
	v_pk_fma_f32 v[16:17], v[18:19], v[30:31], v[16:17] op_sel:[0,0,1] op_sel_hi:[1,0,0] neg_lo:[1,0,0] neg_hi:[1,0,0]
	s_nop 0
	v_mov_b32_e32 v25, v17
	s_waitcnt vmcnt(1)
	v_pk_mul_f32 v[16:17], v[20:21], v[12:13] op_sel:[0,1]
	s_nop 0
	v_pk_fma_f32 v[18:19], v[20:21], v[12:13], v[16:17] op_sel:[0,0,1] op_sel_hi:[1,1,0]
	v_pk_fma_f32 v[12:13], v[20:21], v[12:13], v[16:17] op_sel:[0,0,1] op_sel_hi:[1,0,0] neg_lo:[1,0,0] neg_hi:[1,0,0]
	s_nop 0
	v_mov_b32_e32 v19, v13
	v_pk_mul_f32 v[12:13], v[22:23], v[14:15] op_sel:[0,1]
	v_pk_add_f32 v[18:19], v[40:41], v[18:19] neg_lo:[0,1] neg_hi:[0,1]
	v_pk_fma_f32 v[16:17], v[22:23], v[14:15], v[12:13] op_sel:[0,0,1] op_sel_hi:[1,1,0]
	v_pk_fma_f32 v[12:13], v[22:23], v[14:15], v[12:13] op_sel:[0,0,1] op_sel_hi:[1,0,0] neg_lo:[1,0,0] neg_hi:[1,0,0]
	s_nop 0
	v_mov_b32_e32 v17, v13
	s_waitcnt vmcnt(0)
	v_pk_mul_f32 v[12:13], v[42:43], v[36:37] op_sel:[0,1]
	v_pk_add_f32 v[16:17], v[34:35], v[16:17] neg_lo:[0,1] neg_hi:[0,1]
	v_pk_fma_f32 v[14:15], v[42:43], v[36:37], v[12:13] op_sel:[0,0,1] op_sel_hi:[1,1,0]
	v_pk_fma_f32 v[12:13], v[42:43], v[36:37], v[12:13] op_sel:[0,0,1] op_sel_hi:[1,0,0] neg_lo:[0,0,1] neg_hi:[0,0,1]
	v_pk_fma_f32 v[22:23], v[34:35], 2.0, v[16:17] op_sel_hi:[1,0,1] neg_lo:[0,0,1] neg_hi:[0,0,1]
	v_mov_b32_e32 v15, v13
	v_pk_add_f32 v[12:13], v[32:33], v[24:25] neg_lo:[0,1] neg_hi:[0,1]
	v_pk_add_f32 v[14:15], v[26:27], v[14:15] neg_lo:[0,1] neg_hi:[0,1]
	v_pk_fma_f32 v[24:25], v[40:41], 2.0, v[18:19] op_sel_hi:[1,0,1] neg_lo:[0,0,1] neg_hi:[0,0,1]
	v_pk_fma_f32 v[26:27], v[26:27], 2.0, v[14:15] op_sel_hi:[1,0,1] neg_lo:[0,0,1] neg_hi:[0,0,1]
	v_add_f32_e32 v5, v12, v17
	v_sub_f32_e32 v28, v13, v16
	v_pk_fma_f32 v[20:21], v[32:33], 2.0, v[12:13] op_sel_hi:[1,0,1] neg_lo:[0,0,1] neg_hi:[0,0,1]
	v_fma_f32 v29, v12, 2.0, -v5
	v_fma_f32 v30, v13, 2.0, -v28
	v_pk_add_f32 v[12:13], v[24:25], v[26:27] neg_lo:[0,1] neg_hi:[0,1]
	v_pk_add_f32 v[22:23], v[20:21], v[22:23] neg_lo:[0,1] neg_hi:[0,1]
	v_pk_fma_f32 v[16:17], v[24:25], 2.0, v[12:13] op_sel_hi:[1,0,1] neg_lo:[0,0,1] neg_hi:[0,0,1]
	v_add_f32_e32 v24, v18, v15
	v_sub_f32_e32 v25, v19, v14
	v_fma_f32 v18, v18, 2.0, -v24
	v_pk_fma_f32 v[20:21], v[20:21], 2.0, v[22:23] op_sel_hi:[1,0,1] neg_lo:[0,0,1] neg_hi:[0,0,1]
	v_fma_f32 v19, v19, 2.0, -v25
	v_fmamk_f32 v26, v18, 0xbf3504f3, v29
	v_pk_add_f32 v[14:15], v[20:21], v[16:17] neg_lo:[0,1] neg_hi:[0,1]
	v_fmamk_f32 v27, v19, 0xbf3504f3, v30
	v_fmac_f32_e32 v26, 0x3f3504f3, v19
	v_pk_fma_f32 v[16:17], v[20:21], 2.0, v[14:15] op_sel_hi:[1,0,1] neg_lo:[0,0,1] neg_hi:[0,0,1]
	v_fmac_f32_e32 v27, 0xbf3504f3, v18
	v_fma_f32 v20, v29, 2.0, -v26
	v_add_f32_e32 v29, v22, v13
	v_fmamk_f32 v31, v24, 0x3f3504f3, v5
	v_fma_f32 v21, v30, 2.0, -v27
	v_sub_f32_e32 v30, v23, v12
	v_fma_f32 v22, v22, 2.0, -v29
	v_fmamk_f32 v32, v25, 0x3f3504f3, v28
	v_fmac_f32_e32 v31, 0x3f3504f3, v25
	v_pk_mul_f32 v[12:13], v[16:17], v[0:1] op_sel_hi:[1,0]
	v_mul_f32_e32 v0, v20, v11
	v_fma_f32 v23, v23, 2.0, -v30
	v_fmac_f32_e32 v32, 0xbf3504f3, v24
	v_fma_f32 v5, v5, 2.0, -v31
	v_pk_fma_f32 v[18:19], v[16:17], v[38:39], v[12:13] op_sel:[0,0,1] op_sel_hi:[1,1,0]
	v_pk_fma_f32 v[12:13], v[16:17], v[38:39], v[12:13] op_sel:[0,0,1] op_sel_hi:[1,0,0] neg_lo:[0,0,1] neg_hi:[0,0,1]
	v_fma_f32 v17, v21, v54, -v0
	v_mul_f32_e32 v0, v22, v60
	v_fma_f32 v24, v28, 2.0, -v32
	v_mul_f32_e32 v16, v21, v11
	v_fma_f32 v21, v23, v55, -v0
	v_mul_f32_e32 v0, v5, v61
	v_fmac_f32_e32 v16, v20, v54
	v_mul_f32_e32 v20, v23, v60
	v_fma_f32 v23, v24, v56, -v0
	v_mul_f32_e32 v0, v14, v62
	v_fmac_f32_e32 v20, v22, v55
	v_mul_f32_e32 v22, v24, v61
	v_mul_f32_e32 v24, v15, v62
	v_fma_f32 v25, v15, v39, -v0
	v_mul_f32_e32 v0, v26, v45
	v_fmac_f32_e32 v24, v14, v39
	v_mul_f32_e32 v14, v27, v45
	v_fma_f32 v15, v27, v57, -v0
	v_mul_f32_e32 v0, v29, v46
	v_fmac_f32_e32 v14, v26, v57
	v_mul_f32_e32 v26, v30, v46
	v_fma_f32 v27, v30, v44, -v0
	v_mul_f32_e32 v28, v32, v48
	v_mul_f32_e32 v0, v31, v48
	v_mov_b32_e32 v19, v13
	v_fmac_f32_e32 v22, v5, v56
	v_fmac_f32_e32 v26, v29, v44
	;; [unrolled: 1-line block ×3, first 2 shown]
	v_fma_f32 v29, v32, v47, -v0
	ds_write2st64_b64 v4, v[18:19], v[16:17] offset1:1
	ds_write2st64_b64 v4, v[20:21], v[22:23] offset0:2 offset1:3
	ds_write2st64_b64 v4, v[24:25], v[14:15] offset0:4 offset1:5
	;; [unrolled: 1-line block ×3, first 2 shown]
	s_waitcnt lgkmcnt(0)
	s_barrier
	s_and_saveexec_b64 s[8:9], s[0:1]
	s_cbranch_execz .LBB0_15
; %bb.14:
	s_mul_i32 s0, s3, s24
	s_mul_hi_u32 s1, s2, s24
	s_add_i32 s1, s1, s0
	s_mul_i32 s0, s2, s24
	v_mad_u64_u32 v[4:5], s[2:3], s6, v10, 0
	v_mov_b32_e32 v0, v5
	v_mad_u64_u32 v[10:11], s[2:3], s7, v10, v[0:1]
	v_mov_b32_e32 v5, v10
	;; [unrolled: 2-line block ×3, first 2 shown]
	v_mad_u64_u32 v[12:13], s[2:3], s5, v1, v[0:1]
	v_or_b32_e32 v0, v9, v1
	v_lshl_add_u32 v0, v0, 3, 0
	s_lshl_b64 s[0:1], s[0:1], 3
	v_mov_b32_e32 v11, v12
	s_add_u32 s0, s10, s0
	ds_read_b64 v[12:13], v0
	s_addc_u32 s1, s11, s1
	v_lshlrev_b64 v[2:3], 3, v[2:3]
	v_lshl_add_u64 v[2:3], s[0:1], 0, v[2:3]
	v_lshl_add_u64 v[14:15], v[4:5], 3, v[2:3]
	;; [unrolled: 1-line block ×3, first 2 shown]
	s_waitcnt lgkmcnt(0)
	global_store_dwordx2 v[2:3], v[12:13], off
	v_add_u32_e32 v2, v9, v1
	v_lshl_add_u32 v16, v2, 3, 0
	v_mad_u64_u32 v[10:11], s[0:1], s4, v8, 0
	ds_read2st64_b64 v[2:5], v16 offset0:1 offset1:2
	v_mov_b32_e32 v0, v11
	v_mad_u64_u32 v[8:9], s[0:1], s5, v8, v[0:1]
	v_mov_b32_e32 v11, v8
	v_lshl_add_u64 v[12:13], v[10:11], 3, v[14:15]
	ds_read2st64_b64 v[8:11], v16 offset0:3 offset1:4
	s_waitcnt lgkmcnt(1)
	global_store_dwordx2 v[12:13], v[2:3], off
	v_add_u32_e32 v12, 0x80, v1
	v_mad_u64_u32 v[2:3], s[0:1], s4, v12, 0
	v_mov_b32_e32 v0, v3
	v_mad_u64_u32 v[12:13], s[0:1], s5, v12, v[0:1]
	v_mov_b32_e32 v3, v12
	v_lshl_add_u64 v[2:3], v[2:3], 3, v[14:15]
	global_store_dwordx2 v[2:3], v[4:5], off
	v_add_u32_e32 v4, 0xc0, v1
	v_mad_u64_u32 v[2:3], s[0:1], s4, v4, 0
	v_mov_b32_e32 v0, v3
	v_mad_u64_u32 v[4:5], s[0:1], s5, v4, v[0:1]
	v_mov_b32_e32 v3, v4
	v_lshl_add_u64 v[2:3], v[2:3], 3, v[14:15]
	v_or_b32_e32 v4, 0x100, v1
	s_waitcnt lgkmcnt(0)
	global_store_dwordx2 v[2:3], v[8:9], off
	v_mad_u64_u32 v[2:3], s[0:1], s4, v4, 0
	v_mov_b32_e32 v0, v3
	v_mad_u64_u32 v[4:5], s[0:1], s5, v4, v[0:1]
	v_mov_b32_e32 v3, v4
	v_lshl_add_u64 v[2:3], v[2:3], 3, v[14:15]
	global_store_dwordx2 v[2:3], v[10:11], off
	v_add_u32_e32 v10, 0x140, v1
	v_add3_u32 v11, 0, v6, v7
	v_mad_u64_u32 v[8:9], s[0:1], s4, v10, 0
	ds_read2st64_b64 v[2:5], v11 offset0:5 offset1:6
	v_mov_b32_e32 v0, v9
	v_mad_u64_u32 v[6:7], s[0:1], s5, v10, v[0:1]
	v_mov_b32_e32 v9, v6
	v_lshl_add_u64 v[6:7], v[8:9], 3, v[14:15]
	ds_read_b64 v[8:9], v11 offset:3584
	s_waitcnt lgkmcnt(1)
	global_store_dwordx2 v[6:7], v[2:3], off
	v_add_u32_e32 v6, 0x180, v1
	v_mad_u64_u32 v[2:3], s[0:1], s4, v6, 0
	v_mov_b32_e32 v0, v3
	v_mad_u64_u32 v[6:7], s[0:1], s5, v6, v[0:1]
	v_mov_b32_e32 v3, v6
	v_lshl_add_u64 v[2:3], v[2:3], 3, v[14:15]
	global_store_dwordx2 v[2:3], v[4:5], off
	v_add_u32_e32 v3, 0x1c0, v1
	v_mad_u64_u32 v[0:1], s[0:1], s4, v3, 0
	v_mov_b32_e32 v2, v1
	v_mad_u64_u32 v[2:3], s[0:1], s5, v3, v[2:3]
	v_mov_b32_e32 v1, v2
	v_lshl_add_u64 v[0:1], v[0:1], 3, v[14:15]
	s_waitcnt lgkmcnt(0)
	global_store_dwordx2 v[0:1], v[8:9], off
.LBB0_15:
	s_endpgm
	.section	.rodata,"a",@progbits
	.p2align	6, 0x0
	.amdhsa_kernel fft_rtc_back_len512_factors_8_8_8_wgs_256_tpt_64_sp_op_CI_CI_sbcc_twdbase8_3step
		.amdhsa_group_segment_fixed_size 0
		.amdhsa_private_segment_fixed_size 0
		.amdhsa_kernarg_size 112
		.amdhsa_user_sgpr_count 2
		.amdhsa_user_sgpr_dispatch_ptr 0
		.amdhsa_user_sgpr_queue_ptr 0
		.amdhsa_user_sgpr_kernarg_segment_ptr 1
		.amdhsa_user_sgpr_dispatch_id 0
		.amdhsa_user_sgpr_kernarg_preload_length 0
		.amdhsa_user_sgpr_kernarg_preload_offset 0
		.amdhsa_user_sgpr_private_segment_size 0
		.amdhsa_uses_dynamic_stack 0
		.amdhsa_enable_private_segment 0
		.amdhsa_system_sgpr_workgroup_id_x 1
		.amdhsa_system_sgpr_workgroup_id_y 0
		.amdhsa_system_sgpr_workgroup_id_z 0
		.amdhsa_system_sgpr_workgroup_info 0
		.amdhsa_system_vgpr_workitem_id 0
		.amdhsa_next_free_vgpr 63
		.amdhsa_next_free_sgpr 53
		.amdhsa_accum_offset 64
		.amdhsa_reserve_vcc 1
		.amdhsa_float_round_mode_32 0
		.amdhsa_float_round_mode_16_64 0
		.amdhsa_float_denorm_mode_32 3
		.amdhsa_float_denorm_mode_16_64 3
		.amdhsa_dx10_clamp 1
		.amdhsa_ieee_mode 1
		.amdhsa_fp16_overflow 0
		.amdhsa_tg_split 0
		.amdhsa_exception_fp_ieee_invalid_op 0
		.amdhsa_exception_fp_denorm_src 0
		.amdhsa_exception_fp_ieee_div_zero 0
		.amdhsa_exception_fp_ieee_overflow 0
		.amdhsa_exception_fp_ieee_underflow 0
		.amdhsa_exception_fp_ieee_inexact 0
		.amdhsa_exception_int_div_zero 0
	.end_amdhsa_kernel
	.text
.Lfunc_end0:
	.size	fft_rtc_back_len512_factors_8_8_8_wgs_256_tpt_64_sp_op_CI_CI_sbcc_twdbase8_3step, .Lfunc_end0-fft_rtc_back_len512_factors_8_8_8_wgs_256_tpt_64_sp_op_CI_CI_sbcc_twdbase8_3step
                                        ; -- End function
	.section	.AMDGPU.csdata,"",@progbits
; Kernel info:
; codeLenInByte = 5404
; NumSgprs: 59
; NumVgprs: 63
; NumAgprs: 0
; TotalNumVgprs: 63
; ScratchSize: 0
; MemoryBound: 0
; FloatMode: 240
; IeeeMode: 1
; LDSByteSize: 0 bytes/workgroup (compile time only)
; SGPRBlocks: 7
; VGPRBlocks: 7
; NumSGPRsForWavesPerEU: 59
; NumVGPRsForWavesPerEU: 63
; AccumOffset: 64
; Occupancy: 8
; WaveLimiterHint : 1
; COMPUTE_PGM_RSRC2:SCRATCH_EN: 0
; COMPUTE_PGM_RSRC2:USER_SGPR: 2
; COMPUTE_PGM_RSRC2:TRAP_HANDLER: 0
; COMPUTE_PGM_RSRC2:TGID_X_EN: 1
; COMPUTE_PGM_RSRC2:TGID_Y_EN: 0
; COMPUTE_PGM_RSRC2:TGID_Z_EN: 0
; COMPUTE_PGM_RSRC2:TIDIG_COMP_CNT: 0
; COMPUTE_PGM_RSRC3_GFX90A:ACCUM_OFFSET: 15
; COMPUTE_PGM_RSRC3_GFX90A:TG_SPLIT: 0
	.text
	.p2alignl 6, 3212836864
	.fill 256, 4, 3212836864
	.type	__hip_cuid_aef5d4d4d99e39e9,@object ; @__hip_cuid_aef5d4d4d99e39e9
	.section	.bss,"aw",@nobits
	.globl	__hip_cuid_aef5d4d4d99e39e9
__hip_cuid_aef5d4d4d99e39e9:
	.byte	0                               ; 0x0
	.size	__hip_cuid_aef5d4d4d99e39e9, 1

	.ident	"AMD clang version 19.0.0git (https://github.com/RadeonOpenCompute/llvm-project roc-6.4.0 25133 c7fe45cf4b819c5991fe208aaa96edf142730f1d)"
	.section	".note.GNU-stack","",@progbits
	.addrsig
	.addrsig_sym __hip_cuid_aef5d4d4d99e39e9
	.amdgpu_metadata
---
amdhsa.kernels:
  - .agpr_count:     0
    .args:
      - .actual_access:  read_only
        .address_space:  global
        .offset:         0
        .size:           8
        .value_kind:     global_buffer
      - .address_space:  global
        .offset:         8
        .size:           8
        .value_kind:     global_buffer
      - .offset:         16
        .size:           8
        .value_kind:     by_value
      - .actual_access:  read_only
        .address_space:  global
        .offset:         24
        .size:           8
        .value_kind:     global_buffer
      - .actual_access:  read_only
        .address_space:  global
        .offset:         32
        .size:           8
        .value_kind:     global_buffer
      - .actual_access:  read_only
        .address_space:  global
        .offset:         40
        .size:           8
        .value_kind:     global_buffer
      - .offset:         48
        .size:           8
        .value_kind:     by_value
      - .actual_access:  read_only
        .address_space:  global
        .offset:         56
        .size:           8
        .value_kind:     global_buffer
      - .actual_access:  read_only
        .address_space:  global
        .offset:         64
        .size:           8
        .value_kind:     global_buffer
      - .offset:         72
        .size:           4
        .value_kind:     by_value
      - .actual_access:  read_only
        .address_space:  global
        .offset:         80
        .size:           8
        .value_kind:     global_buffer
      - .actual_access:  read_only
        .address_space:  global
        .offset:         88
        .size:           8
        .value_kind:     global_buffer
      - .actual_access:  read_only
        .address_space:  global
        .offset:         96
        .size:           8
        .value_kind:     global_buffer
      - .actual_access:  write_only
        .address_space:  global
        .offset:         104
        .size:           8
        .value_kind:     global_buffer
    .group_segment_fixed_size: 0
    .kernarg_segment_align: 8
    .kernarg_segment_size: 112
    .language:       OpenCL C
    .language_version:
      - 2
      - 0
    .max_flat_workgroup_size: 256
    .name:           fft_rtc_back_len512_factors_8_8_8_wgs_256_tpt_64_sp_op_CI_CI_sbcc_twdbase8_3step
    .private_segment_fixed_size: 0
    .sgpr_count:     59
    .sgpr_spill_count: 0
    .symbol:         fft_rtc_back_len512_factors_8_8_8_wgs_256_tpt_64_sp_op_CI_CI_sbcc_twdbase8_3step.kd
    .uniform_work_group_size: 1
    .uses_dynamic_stack: false
    .vgpr_count:     63
    .vgpr_spill_count: 0
    .wavefront_size: 64
amdhsa.target:   amdgcn-amd-amdhsa--gfx950
amdhsa.version:
  - 1
  - 2
...

	.end_amdgpu_metadata
